;; amdgpu-corpus repo=ROCm/rocFFT kind=compiled arch=gfx1030 opt=O3
	.text
	.amdgcn_target "amdgcn-amd-amdhsa--gfx1030"
	.amdhsa_code_object_version 6
	.protected	fft_rtc_back_len640_factors_8_10_8_wgs_128_tpt_64_halfLds_sp_op_CI_CI_sbrr_dirReg ; -- Begin function fft_rtc_back_len640_factors_8_10_8_wgs_128_tpt_64_halfLds_sp_op_CI_CI_sbrr_dirReg
	.globl	fft_rtc_back_len640_factors_8_10_8_wgs_128_tpt_64_halfLds_sp_op_CI_CI_sbrr_dirReg
	.p2align	8
	.type	fft_rtc_back_len640_factors_8_10_8_wgs_128_tpt_64_halfLds_sp_op_CI_CI_sbrr_dirReg,@function
fft_rtc_back_len640_factors_8_10_8_wgs_128_tpt_64_halfLds_sp_op_CI_CI_sbrr_dirReg: ; @fft_rtc_back_len640_factors_8_10_8_wgs_128_tpt_64_halfLds_sp_op_CI_CI_sbrr_dirReg
; %bb.0:
	s_clause 0x2
	s_load_dwordx4 s[16:19], s[4:5], 0x18
	s_load_dwordx4 s[8:11], s[4:5], 0x0
	;; [unrolled: 1-line block ×3, first 2 shown]
	v_lshrrev_b32_e32 v1, 6, v0
	v_mov_b32_e32 v3, 0
	s_waitcnt lgkmcnt(0)
	s_load_dwordx2 s[20:21], s[16:17], 0x0
	s_load_dwordx2 s[2:3], s[18:19], 0x0
	v_cmp_lt_u64_e64 s0, s[10:11], 2
	v_lshl_or_b32 v5, s6, 1, v1
	v_mov_b32_e32 v1, 0
	v_mov_b32_e32 v6, v3
	;; [unrolled: 1-line block ×3, first 2 shown]
	s_and_b32 vcc_lo, exec_lo, s0
	s_cbranch_vccnz .LBB0_8
; %bb.1:
	s_load_dwordx2 s[0:1], s[4:5], 0x10
	v_mov_b32_e32 v1, 0
	v_mov_b32_e32 v2, 0
	s_add_u32 s6, s18, 8
	s_addc_u32 s7, s19, 0
	s_add_u32 s22, s16, 8
	s_addc_u32 s23, s17, 0
	v_mov_b32_e32 v16, v2
	v_mov_b32_e32 v15, v1
	s_mov_b64 s[26:27], 1
	s_waitcnt lgkmcnt(0)
	s_add_u32 s24, s0, 8
	s_addc_u32 s25, s1, 0
.LBB0_2:                                ; =>This Inner Loop Header: Depth=1
	s_load_dwordx2 s[28:29], s[24:25], 0x0
                                        ; implicit-def: $vgpr17_vgpr18
	s_mov_b32 s0, exec_lo
	s_waitcnt lgkmcnt(0)
	v_or_b32_e32 v4, s29, v6
	v_cmpx_ne_u64_e32 0, v[3:4]
	s_xor_b32 s1, exec_lo, s0
	s_cbranch_execz .LBB0_4
; %bb.3:                                ;   in Loop: Header=BB0_2 Depth=1
	v_cvt_f32_u32_e32 v4, s28
	v_cvt_f32_u32_e32 v7, s29
	s_sub_u32 s0, 0, s28
	s_subb_u32 s30, 0, s29
	v_fmac_f32_e32 v4, 0x4f800000, v7
	v_rcp_f32_e32 v4, v4
	v_mul_f32_e32 v4, 0x5f7ffffc, v4
	v_mul_f32_e32 v7, 0x2f800000, v4
	v_trunc_f32_e32 v7, v7
	v_fmac_f32_e32 v4, 0xcf800000, v7
	v_cvt_u32_f32_e32 v7, v7
	v_cvt_u32_f32_e32 v4, v4
	v_mul_lo_u32 v8, s0, v7
	v_mul_hi_u32 v9, s0, v4
	v_mul_lo_u32 v10, s30, v4
	v_add_nc_u32_e32 v8, v9, v8
	v_mul_lo_u32 v9, s0, v4
	v_add_nc_u32_e32 v8, v8, v10
	v_mul_hi_u32 v10, v4, v9
	v_mul_lo_u32 v11, v4, v8
	v_mul_hi_u32 v12, v4, v8
	v_mul_hi_u32 v13, v7, v9
	v_mul_lo_u32 v9, v7, v9
	v_mul_hi_u32 v14, v7, v8
	v_mul_lo_u32 v8, v7, v8
	v_add_co_u32 v10, vcc_lo, v10, v11
	v_add_co_ci_u32_e32 v11, vcc_lo, 0, v12, vcc_lo
	v_add_co_u32 v9, vcc_lo, v10, v9
	v_add_co_ci_u32_e32 v9, vcc_lo, v11, v13, vcc_lo
	v_add_co_ci_u32_e32 v10, vcc_lo, 0, v14, vcc_lo
	v_add_co_u32 v8, vcc_lo, v9, v8
	v_add_co_ci_u32_e32 v9, vcc_lo, 0, v10, vcc_lo
	v_add_co_u32 v4, vcc_lo, v4, v8
	v_add_co_ci_u32_e32 v7, vcc_lo, v7, v9, vcc_lo
	v_mul_hi_u32 v8, s0, v4
	v_mul_lo_u32 v10, s30, v4
	v_mul_lo_u32 v9, s0, v7
	v_add_nc_u32_e32 v8, v8, v9
	v_mul_lo_u32 v9, s0, v4
	v_add_nc_u32_e32 v8, v8, v10
	v_mul_hi_u32 v10, v4, v9
	v_mul_lo_u32 v11, v4, v8
	v_mul_hi_u32 v12, v4, v8
	v_mul_hi_u32 v13, v7, v9
	v_mul_lo_u32 v9, v7, v9
	v_mul_hi_u32 v14, v7, v8
	v_mul_lo_u32 v8, v7, v8
	v_add_co_u32 v10, vcc_lo, v10, v11
	v_add_co_ci_u32_e32 v11, vcc_lo, 0, v12, vcc_lo
	v_add_co_u32 v9, vcc_lo, v10, v9
	v_add_co_ci_u32_e32 v9, vcc_lo, v11, v13, vcc_lo
	v_add_co_ci_u32_e32 v10, vcc_lo, 0, v14, vcc_lo
	v_add_co_u32 v8, vcc_lo, v9, v8
	v_add_co_ci_u32_e32 v9, vcc_lo, 0, v10, vcc_lo
	v_add_co_u32 v4, vcc_lo, v4, v8
	v_add_co_ci_u32_e32 v11, vcc_lo, v7, v9, vcc_lo
	v_mul_hi_u32 v13, v5, v4
	v_mad_u64_u32 v[9:10], null, v6, v4, 0
	v_mad_u64_u32 v[7:8], null, v5, v11, 0
	v_mad_u64_u32 v[11:12], null, v6, v11, 0
	v_add_co_u32 v4, vcc_lo, v13, v7
	v_add_co_ci_u32_e32 v7, vcc_lo, 0, v8, vcc_lo
	v_add_co_u32 v4, vcc_lo, v4, v9
	v_add_co_ci_u32_e32 v4, vcc_lo, v7, v10, vcc_lo
	v_add_co_ci_u32_e32 v7, vcc_lo, 0, v12, vcc_lo
	v_add_co_u32 v4, vcc_lo, v4, v11
	v_add_co_ci_u32_e32 v9, vcc_lo, 0, v7, vcc_lo
	v_mul_lo_u32 v10, s29, v4
	v_mad_u64_u32 v[7:8], null, s28, v4, 0
	v_mul_lo_u32 v11, s28, v9
	v_sub_co_u32 v7, vcc_lo, v5, v7
	v_add3_u32 v8, v8, v11, v10
	v_sub_nc_u32_e32 v10, v6, v8
	v_subrev_co_ci_u32_e64 v10, s0, s29, v10, vcc_lo
	v_add_co_u32 v11, s0, v4, 2
	v_add_co_ci_u32_e64 v12, s0, 0, v9, s0
	v_sub_co_u32 v13, s0, v7, s28
	v_sub_co_ci_u32_e32 v8, vcc_lo, v6, v8, vcc_lo
	v_subrev_co_ci_u32_e64 v10, s0, 0, v10, s0
	v_cmp_le_u32_e32 vcc_lo, s28, v13
	v_cmp_eq_u32_e64 s0, s29, v8
	v_cndmask_b32_e64 v13, 0, -1, vcc_lo
	v_cmp_le_u32_e32 vcc_lo, s29, v10
	v_cndmask_b32_e64 v14, 0, -1, vcc_lo
	v_cmp_le_u32_e32 vcc_lo, s28, v7
	;; [unrolled: 2-line block ×3, first 2 shown]
	v_cndmask_b32_e64 v17, 0, -1, vcc_lo
	v_cmp_eq_u32_e32 vcc_lo, s29, v10
	v_cndmask_b32_e64 v7, v17, v7, s0
	v_cndmask_b32_e32 v10, v14, v13, vcc_lo
	v_add_co_u32 v13, vcc_lo, v4, 1
	v_add_co_ci_u32_e32 v14, vcc_lo, 0, v9, vcc_lo
	v_cmp_ne_u32_e32 vcc_lo, 0, v10
	v_cndmask_b32_e32 v8, v14, v12, vcc_lo
	v_cndmask_b32_e32 v10, v13, v11, vcc_lo
	v_cmp_ne_u32_e32 vcc_lo, 0, v7
	v_cndmask_b32_e32 v18, v9, v8, vcc_lo
	v_cndmask_b32_e32 v17, v4, v10, vcc_lo
.LBB0_4:                                ;   in Loop: Header=BB0_2 Depth=1
	s_andn2_saveexec_b32 s0, s1
	s_cbranch_execz .LBB0_6
; %bb.5:                                ;   in Loop: Header=BB0_2 Depth=1
	v_cvt_f32_u32_e32 v4, s28
	s_sub_i32 s1, 0, s28
	v_mov_b32_e32 v18, v3
	v_rcp_iflag_f32_e32 v4, v4
	v_mul_f32_e32 v4, 0x4f7ffffe, v4
	v_cvt_u32_f32_e32 v4, v4
	v_mul_lo_u32 v7, s1, v4
	v_mul_hi_u32 v7, v4, v7
	v_add_nc_u32_e32 v4, v4, v7
	v_mul_hi_u32 v4, v5, v4
	v_mul_lo_u32 v7, v4, s28
	v_add_nc_u32_e32 v8, 1, v4
	v_sub_nc_u32_e32 v7, v5, v7
	v_subrev_nc_u32_e32 v9, s28, v7
	v_cmp_le_u32_e32 vcc_lo, s28, v7
	v_cndmask_b32_e32 v7, v7, v9, vcc_lo
	v_cndmask_b32_e32 v4, v4, v8, vcc_lo
	v_cmp_le_u32_e32 vcc_lo, s28, v7
	v_add_nc_u32_e32 v8, 1, v4
	v_cndmask_b32_e32 v17, v4, v8, vcc_lo
.LBB0_6:                                ;   in Loop: Header=BB0_2 Depth=1
	s_or_b32 exec_lo, exec_lo, s0
	v_mul_lo_u32 v4, v18, s28
	v_mul_lo_u32 v9, v17, s29
	s_load_dwordx2 s[0:1], s[22:23], 0x0
	v_mad_u64_u32 v[7:8], null, v17, s28, 0
	s_load_dwordx2 s[28:29], s[6:7], 0x0
	s_add_u32 s26, s26, 1
	s_addc_u32 s27, s27, 0
	s_add_u32 s6, s6, 8
	s_addc_u32 s7, s7, 0
	s_add_u32 s22, s22, 8
	v_add3_u32 v4, v8, v9, v4
	v_sub_co_u32 v5, vcc_lo, v5, v7
	s_addc_u32 s23, s23, 0
	s_add_u32 s24, s24, 8
	v_sub_co_ci_u32_e32 v4, vcc_lo, v6, v4, vcc_lo
	s_addc_u32 s25, s25, 0
	s_waitcnt lgkmcnt(0)
	v_mul_lo_u32 v6, s0, v4
	v_mul_lo_u32 v7, s1, v5
	v_mad_u64_u32 v[1:2], null, s0, v5, v[1:2]
	v_mul_lo_u32 v4, s28, v4
	v_mul_lo_u32 v8, s29, v5
	v_mad_u64_u32 v[15:16], null, s28, v5, v[15:16]
	v_cmp_ge_u64_e64 s0, s[26:27], s[10:11]
	v_add3_u32 v2, v7, v2, v6
	v_add3_u32 v16, v8, v16, v4
	s_and_b32 vcc_lo, exec_lo, s0
	s_cbranch_vccnz .LBB0_9
; %bb.7:                                ;   in Loop: Header=BB0_2 Depth=1
	v_mov_b32_e32 v5, v17
	v_mov_b32_e32 v6, v18
	s_branch .LBB0_2
.LBB0_8:
	v_mov_b32_e32 v16, v2
	v_mov_b32_e32 v18, v6
	;; [unrolled: 1-line block ×4, first 2 shown]
.LBB0_9:
	s_load_dwordx2 s[0:1], s[4:5], 0x28
	s_lshl_b64 s[6:7], s[10:11], 3
	v_and_b32_e32 v39, 63, v0
	s_add_u32 s4, s18, s6
	s_addc_u32 s5, s19, s7
                                        ; implicit-def: $sgpr10
                                        ; implicit-def: $vgpr40
	s_waitcnt lgkmcnt(0)
	v_cmp_gt_u64_e32 vcc_lo, s[0:1], v[17:18]
	v_cmp_le_u64_e64 s0, s[0:1], v[17:18]
	s_and_saveexec_b32 s1, s0
	s_xor_b32 s0, exec_lo, s1
; %bb.10:
	v_and_b32_e32 v39, 63, v0
	s_mov_b32 s10, 0
                                        ; implicit-def: $vgpr1_vgpr2
	v_or_b32_e32 v40, 64, v39
; %bb.11:
	s_or_saveexec_b32 s1, s0
	s_load_dwordx2 s[4:5], s[4:5], 0x0
	v_mov_b32_e32 v12, s10
	v_mov_b32_e32 v11, s10
	;; [unrolled: 1-line block ×8, first 2 shown]
                                        ; implicit-def: $vgpr5
                                        ; implicit-def: $vgpr20
                                        ; implicit-def: $vgpr7
                                        ; implicit-def: $vgpr3
                                        ; implicit-def: $vgpr9
                                        ; implicit-def: $vgpr22
                                        ; implicit-def: $vgpr26
                                        ; implicit-def: $vgpr28
                                        ; implicit-def: $vgpr34
                                        ; implicit-def: $vgpr38
                                        ; implicit-def: $vgpr36
                                        ; implicit-def: $vgpr24
	s_xor_b32 exec_lo, exec_lo, s1
	s_cbranch_execz .LBB0_15
; %bb.12:
	s_add_u32 s6, s16, s6
	s_addc_u32 s7, s17, s7
	v_add_nc_u32_e32 v14, 0x50, v39
	s_load_dwordx2 s[6:7], s[6:7], 0x0
	v_mad_u64_u32 v[3:4], null, s20, v39, 0
	v_add_nc_u32_e32 v22, 0xa0, v39
	v_mad_u64_u32 v[5:6], null, s20, v14, 0
	v_add_nc_u32_e32 v23, 0xf0, v39
	v_lshlrev_b64 v[1:2], 3, v[1:2]
	v_mad_u64_u32 v[7:8], null, s20, v22, 0
	v_or_b32_e32 v26, 0x140, v39
	v_add_nc_u32_e32 v27, 0x190, v39
	v_mad_u64_u32 v[11:12], null, s21, v39, v[4:5]
	v_mov_b32_e32 v4, v6
	v_mad_u64_u32 v[12:13], null, s20, v23, 0
	v_mov_b32_e32 v6, v8
	v_or_b32_e32 v40, 64, v39
                                        ; implicit-def: $vgpr35
                                        ; implicit-def: $vgpr37
	s_waitcnt lgkmcnt(0)
	v_mul_lo_u32 v19, s7, v17
	v_mul_lo_u32 v20, s6, v18
	v_mad_u64_u32 v[9:10], null, s6, v17, 0
	s_mov_b32 s6, exec_lo
	v_add3_u32 v10, v10, v20, v19
	v_mad_u64_u32 v[19:20], null, s21, v14, v[4:5]
	v_mov_b32_e32 v4, v11
	v_mad_u64_u32 v[20:21], null, s20, v26, 0
	v_lshlrev_b64 v[8:9], 3, v[9:10]
	v_mad_u64_u32 v[10:11], null, s21, v22, v[6:7]
	v_mov_b32_e32 v11, v13
	v_mov_b32_e32 v6, v19
	v_lshlrev_b64 v[3:4], 3, v[3:4]
	v_add_co_u32 v13, s0, s12, v8
	v_add_co_ci_u32_e64 v9, s0, s13, v9, s0
	v_mov_b32_e32 v8, v10
	v_add_co_u32 v1, s0, v13, v1
	v_add_co_ci_u32_e64 v10, s0, v9, v2, s0
	v_lshlrev_b64 v[5:6], 3, v[5:6]
	v_add_co_u32 v2, s0, v1, v3
	v_add_co_ci_u32_e64 v3, s0, v10, v4, s0
	v_mad_u64_u32 v[13:14], null, s21, v23, v[11:12]
	v_add_co_u32 v24, s0, v1, v5
	v_add_co_ci_u32_e64 v25, s0, v10, v6, s0
	v_lshlrev_b64 v[5:6], 3, v[7:8]
	v_mad_u64_u32 v[22:23], null, s20, v27, 0
	v_mov_b32_e32 v4, v21
	v_add_nc_u32_e32 v11, 0x1e0, v39
	v_add_nc_u32_e32 v14, 0x230, v39
	v_add_co_u32 v29, s0, v1, v5
	v_mad_u64_u32 v[7:8], null, s21, v26, v[4:5]
	v_mad_u64_u32 v[8:9], null, s20, v11, 0
	v_mov_b32_e32 v4, v23
	v_add_co_ci_u32_e64 v30, s0, v10, v6, s0
	v_mov_b32_e32 v21, v7
	v_mad_u64_u32 v[26:27], null, s21, v27, v[4:5]
	v_lshlrev_b64 v[5:6], 3, v[12:13]
	v_mov_b32_e32 v4, v9
	v_mad_u64_u32 v[27:28], null, s20, v14, 0
	v_mad_u64_u32 v[11:12], null, s21, v11, v[4:5]
	v_add_co_u32 v12, s0, v1, v5
	v_add_co_ci_u32_e64 v13, s0, v10, v6, s0
	v_lshlrev_b64 v[5:6], 3, v[20:21]
	v_mov_b32_e32 v4, v28
	v_mov_b32_e32 v23, v26
	;; [unrolled: 1-line block ×4, first 2 shown]
	v_mad_u64_u32 v[19:20], null, s21, v14, v[4:5]
	v_lshlrev_b64 v[20:21], 3, v[22:23]
	v_add_co_u32 v22, s0, v1, v5
	v_lshlrev_b64 v[4:5], 3, v[8:9]
	v_add_co_ci_u32_e64 v23, s0, v10, v6, s0
	v_mov_b32_e32 v28, v19
	v_add_co_u32 v31, s0, v1, v20
	v_add_co_ci_u32_e64 v32, s0, v10, v21, s0
	v_lshlrev_b64 v[6:7], 3, v[27:28]
	v_add_co_u32 v26, s0, v1, v4
	v_add_co_ci_u32_e64 v27, s0, v10, v5, s0
	v_mov_b32_e32 v14, 0
	v_add_co_u32 v33, s0, v1, v6
	v_add_co_ci_u32_e64 v34, s0, v10, v7, s0
	s_clause 0x7
	global_load_dwordx2 v[4:5], v[2:3], off
	global_load_dwordx2 v[19:20], v[24:25], off
	;; [unrolled: 1-line block ×8, first 2 shown]
	v_mov_b32_e32 v29, 0
	v_mov_b32_e32 v30, 0
	;; [unrolled: 1-line block ×6, first 2 shown]
                                        ; implicit-def: $vgpr33
                                        ; implicit-def: $vgpr27
	v_cmpx_gt_u32_e32 0x50, v40
	s_cbranch_execz .LBB0_14
; %bb.13:
	v_add_nc_u32_e32 v31, 0x90, v39
	v_add_nc_u32_e32 v33, 0xe0, v39
	v_mad_u64_u32 v[11:12], null, s20, v40, 0
	v_add_nc_u32_e32 v35, 0x130, v39
	v_mad_u64_u32 v[13:14], null, s20, v31, 0
	v_mad_u64_u32 v[27:28], null, s20, v33, 0
	v_or_b32_e32 v37, 0x180, v39
	v_add_nc_u32_e32 v41, 0x1d0, v39
	v_add_nc_u32_e32 v44, 0x220, v39
	;; [unrolled: 1-line block ×3, first 2 shown]
	v_mad_u64_u32 v[29:30], null, s21, v40, v[12:13]
	v_mov_b32_e32 v12, v28
	v_mad_u64_u32 v[30:31], null, s21, v31, v[14:15]
	v_mad_u64_u32 v[31:32], null, s20, v35, 0
	;; [unrolled: 1-line block ×3, first 2 shown]
	v_mov_b32_e32 v12, v29
	v_mov_b32_e32 v14, v30
	;; [unrolled: 1-line block ×3, first 2 shown]
	v_lshlrev_b64 v[11:12], 3, v[11:12]
	v_mov_b32_e32 v28, v33
	v_mad_u64_u32 v[33:34], null, s20, v37, 0
	v_mad_u64_u32 v[29:30], null, s21, v35, v[29:30]
	;; [unrolled: 1-line block ×3, first 2 shown]
	v_lshlrev_b64 v[13:14], 3, v[13:14]
	v_add_co_u32 v11, s0, v1, v11
	v_mov_b32_e32 v30, v34
	v_mov_b32_e32 v32, v29
	v_lshlrev_b64 v[27:28], 3, v[27:28]
	v_add_co_ci_u32_e64 v12, s0, v10, v12, s0
	v_mad_u64_u32 v[29:30], null, s21, v37, v[30:31]
	v_mad_u64_u32 v[37:38], null, s20, v44, 0
	v_mov_b32_e32 v30, v36
	v_add_co_u32 v13, s0, v1, v13
	v_add_co_ci_u32_e64 v14, s0, v10, v14, s0
	v_mad_u64_u32 v[41:42], null, s21, v41, v[30:31]
	v_lshlrev_b64 v[31:32], 3, v[31:32]
	v_mad_u64_u32 v[42:43], null, s20, v46, 0
	v_mov_b32_e32 v30, v38
	v_add_co_u32 v27, s0, v1, v27
	v_mov_b32_e32 v34, v29
	v_add_co_ci_u32_e64 v28, s0, v10, v28, s0
	v_mad_u64_u32 v[29:30], null, s21, v44, v[30:31]
	v_add_co_u32 v44, s0, v1, v31
	v_add_co_ci_u32_e64 v45, s0, v10, v32, s0
	v_lshlrev_b64 v[31:32], 3, v[33:34]
	v_mov_b32_e32 v30, v43
	v_mov_b32_e32 v36, v41
	;; [unrolled: 1-line block ×3, first 2 shown]
	v_mad_u64_u32 v[33:34], null, s21, v46, v[30:31]
	v_lshlrev_b64 v[34:35], 3, v[35:36]
	v_add_co_u32 v46, s0, v1, v31
	v_lshlrev_b64 v[29:30], 3, v[37:38]
	v_add_co_ci_u32_e64 v47, s0, v10, v32, s0
	v_mov_b32_e32 v43, v33
	v_add_co_u32 v33, s0, v1, v34
	v_add_co_ci_u32_e64 v34, s0, v10, v35, s0
	v_lshlrev_b64 v[31:32], 3, v[42:43]
	v_add_co_u32 v35, s0, v1, v29
	v_add_co_ci_u32_e64 v36, s0, v10, v30, s0
	v_add_co_u32 v41, s0, v1, v31
	v_add_co_ci_u32_e64 v42, s0, v10, v32, s0
	s_clause 0x7
	global_load_dwordx2 v[11:12], v[11:12], off
	global_load_dwordx2 v[31:32], v[13:14], off
	;; [unrolled: 1-line block ×8, first 2 shown]
.LBB0_14:
	s_or_b32 exec_lo, exec_lo, s6
.LBB0_15:
	s_or_b32 exec_lo, exec_lo, s1
	s_waitcnt vmcnt(3)
	v_sub_f32_e32 v1, v4, v8
	s_waitcnt vmcnt(1)
	v_sub_f32_e32 v8, v6, v25
	v_sub_f32_e32 v25, v7, v26
	;; [unrolled: 1-line block ×3, first 2 shown]
	s_waitcnt vmcnt(0)
	v_sub_f32_e32 v21, v2, v23
	v_fma_f32 v4, v4, 2.0, -v1
	v_fma_f32 v6, v6, 2.0, -v8
	v_sub_f32_e32 v24, v3, v24
	v_sub_f32_e32 v23, v20, v22
	v_fma_f32 v19, v19, 2.0, -v10
	v_fma_f32 v2, v2, 2.0, -v21
	v_sub_f32_e32 v26, v4, v6
	v_add_f32_e32 v42, v1, v25
	v_add_f32_e32 v41, v10, v24
	v_fma_f32 v22, v20, 2.0, -v23
	v_sub_f32_e32 v6, v19, v2
	v_fma_f32 v2, v4, 2.0, -v26
	v_fma_f32 v1, v1, 2.0, -v42
	v_sub_f32_e32 v4, v23, v21
	v_fma_f32 v10, v10, 2.0, -v41
	v_fma_f32 v3, v3, 2.0, -v24
	;; [unrolled: 1-line block ×3, first 2 shown]
	v_and_b32_e32 v20, 64, v0
	v_fma_f32 v21, v23, 2.0, -v4
	v_fmamk_f32 v44, v10, 0xbf3504f3, v1
	v_sub_f32_e32 v24, v22, v3
	v_fmamk_f32 v48, v41, 0x3f3504f3, v42
	v_sub_f32_e32 v3, v31, v33
	v_sub_f32_e32 v43, v2, v19
	v_fmac_f32_e32 v44, 0x3f3504f3, v21
	v_add_f32_e32 v47, v26, v24
	v_cmp_ne_u32_e64 s0, 0, v20
	v_mul_f32_e32 v19, 0x3f3504f3, v10
	v_mul_f32_e32 v20, 0x3f3504f3, v21
	v_fma_f32 v46, v1, 2.0, -v44
	v_sub_f32_e32 v1, v11, v27
	v_fma_f32 v49, v26, 2.0, -v47
	v_mul_f32_e32 v21, 0x3f3504f3, v4
	v_fmac_f32_e32 v48, 0x3f3504f3, v4
	v_sub_f32_e32 v23, v13, v37
	v_sub_f32_e32 v26, v14, v38
	v_sub_f32_e32 v4, v29, v35
	v_sub_f32_e32 v10, v32, v34
	v_fma_f32 v27, v31, 2.0, -v3
	v_sub_f32_e32 v31, v30, v36
	v_fma_f32 v45, v2, 2.0, -v43
	v_fma_f32 v2, v11, 2.0, -v1
	;; [unrolled: 1-line block ×5, first 2 shown]
	v_add_f32_e32 v34, v1, v26
	v_fma_f32 v35, v30, 2.0, -v31
	v_add_f32_e32 v38, v3, v31
	v_sub_f32_e32 v11, v2, v11
	v_sub_f32_e32 v30, v27, v29
	v_fma_f32 v33, v1, 2.0, -v34
	v_sub_f32_e32 v52, v10, v4
	v_fma_f32 v3, v3, 2.0, -v38
	v_sub_f32_e32 v31, v13, v35
	v_fmamk_f32 v4, v38, 0x3f3504f3, v34
	v_cndmask_b32_e64 v51, 0, 0x280, s0
	v_fma_f32 v32, v2, 2.0, -v11
	v_fma_f32 v1, v27, 2.0, -v30
	;; [unrolled: 1-line block ×3, first 2 shown]
	v_fmamk_f32 v2, v3, 0xbf3504f3, v33
	v_mul_f32_e32 v36, 0x3f3504f3, v3
	v_add_f32_e32 v3, v11, v31
	v_fmac_f32_e32 v4, 0x3f3504f3, v52
	v_lshl_add_u32 v29, v39, 5, 0
	v_mul_f32_e32 v41, 0x3f3504f3, v41
	v_fma_f32 v50, v42, 2.0, -v48
	v_sub_f32_e32 v1, v32, v1
	v_mul_f32_e32 v37, 0x3f3504f3, v10
	v_fmac_f32_e32 v2, 0x3f3504f3, v10
	v_fma_f32 v10, v11, 2.0, -v3
	v_mul_f32_e32 v38, 0x3f3504f3, v38
	v_mul_f32_e32 v42, 0x3f3504f3, v52
	v_fma_f32 v11, v34, 2.0, -v4
	v_lshl_add_u32 v35, v51, 2, v29
	v_cmp_gt_u32_e64 s0, 16, v39
	v_lshlrev_b32_e32 v27, 2, v51
	ds_write2_b64 v35, v[45:46], v[49:50] offset1:1
	ds_write2_b64 v35, v[43:44], v[47:48] offset0:2 offset1:3
	s_and_saveexec_b32 s1, s0
	s_cbranch_execz .LBB0_17
; %bb.16:
	v_lshlrev_b32_e32 v34, 5, v40
	v_fma_f32 v33, v33, 2.0, -v2
	v_fma_f32 v32, v32, 2.0, -v1
	v_add3_u32 v34, 0, v34, v27
	ds_write2_b64 v34, v[32:33], v[10:11] offset1:1
	ds_write2_b64 v34, v[1:2], v[3:4] offset0:2 offset1:3
.LBB0_17:
	s_or_b32 exec_lo, exec_lo, s1
	v_sub_f32_e32 v9, v5, v9
	v_fma_f32 v7, v7, 2.0, -v25
	v_sub_f32_e32 v46, v12, v28
	v_lshl_add_u32 v28, v40, 2, 0
	v_fma_f32 v22, v22, 2.0, -v24
	v_sub_f32_e32 v50, v9, v8
	v_fma_f32 v5, v5, 2.0, -v9
	v_fma_f32 v8, v14, 2.0, -v26
	v_lshlrev_b32_e32 v14, 2, v39
	v_fma_f32 v51, v12, 2.0, -v46
	v_fma_f32 v9, v9, 2.0, -v50
	v_sub_f32_e32 v7, v5, v7
	v_mul_i32_i24_e32 v24, 0xffffffe4, v39
	v_add3_u32 v34, 0, v27, v14
	v_add_nc_u32_e32 v32, v28, v27
	v_sub_f32_e32 v12, v9, v20
	v_fma_f32 v5, v5, 2.0, -v7
	v_add3_u32 v33, v29, v24, v27
	s_waitcnt lgkmcnt(0)
	v_sub_f32_e32 v52, v46, v23
	v_sub_f32_e32 v44, v12, v19
	;; [unrolled: 1-line block ×3, first 2 shown]
	v_add_f32_e32 v14, v50, v21
	s_barrier
	buffer_gl0_inv
	v_fma_f32 v48, v9, 2.0, -v44
	ds_read_b32 v9, v34
	ds_read_b32 v29, v32
	ds_read2st64_b32 v[25:26], v33 offset0:2 offset1:3
	ds_read2st64_b32 v[23:24], v33 offset0:4 offset1:5
	;; [unrolled: 1-line block ×4, first 2 shown]
	v_sub_f32_e32 v53, v51, v8
	v_sub_f32_e32 v45, v7, v6
	v_fma_f32 v47, v5, 2.0, -v43
	v_fma_f32 v12, v46, 2.0, -v52
	v_add_f32_e32 v5, v52, v42
	v_sub_f32_e32 v46, v14, v41
	v_fma_f32 v49, v7, 2.0, -v45
	v_fma_f32 v41, v51, 2.0, -v53
	;; [unrolled: 1-line block ×3, first 2 shown]
	v_sub_f32_e32 v13, v12, v37
	v_sub_f32_e32 v7, v53, v30
	;; [unrolled: 1-line block ×3, first 2 shown]
	v_fma_f32 v50, v50, 2.0, -v46
	v_sub_f32_e32 v5, v41, v6
	v_sub_f32_e32 v6, v13, v36
	v_fma_f32 v13, v53, 2.0, -v7
	v_fma_f32 v14, v52, 2.0, -v8
	s_waitcnt lgkmcnt(0)
	s_barrier
	buffer_gl0_inv
	ds_write2_b64 v35, v[47:48], v[49:50] offset1:1
	ds_write2_b64 v35, v[43:44], v[45:46] offset0:2 offset1:3
	s_and_saveexec_b32 s1, s0
	s_cbranch_execz .LBB0_19
; %bb.18:
	v_mul_i32_i24_e32 v35, 28, v40
	v_fma_f32 v30, v41, 2.0, -v5
	v_fma_f32 v31, v12, 2.0, -v6
	v_add3_u32 v12, v28, v35, v27
	ds_write2_b64 v12, v[30:31], v[13:14] offset1:1
	ds_write2_b64 v12, v[5:6], v[7:8] offset0:2 offset1:3
.LBB0_19:
	s_or_b32 exec_lo, exec_lo, s1
	v_and_b32_e32 v0, 7, v0
	s_waitcnt lgkmcnt(0)
	s_barrier
	buffer_gl0_inv
	v_add_nc_u32_e32 v28, 0x200, v33
	v_mul_u32_u24_e32 v12, 9, v0
	v_add_nc_u32_e32 v37, 0x400, v33
	v_lshlrev_b32_e32 v12, 3, v12
	s_clause 0x4
	global_load_dwordx4 v[44:47], v12, s[8:9]
	global_load_dwordx4 v[48:51], v12, s[8:9] offset:16
	global_load_dwordx4 v[52:55], v12, s[8:9] offset:32
	;; [unrolled: 1-line block ×3, first 2 shown]
	global_load_dwordx2 v[35:36], v12, s[8:9] offset:64
	v_lshrrev_b32_e32 v12, 3, v39
	ds_read_b32 v38, v32
	ds_read2st64_b32 v[60:61], v33 offset0:2 offset1:3
	ds_read2st64_b32 v[62:63], v33 offset0:4 offset1:5
	v_mul_u32_u24_e32 v12, 0x50, v12
	v_or_b32_e32 v0, v12, v0
	ds_read2st64_b32 v[64:65], v33 offset0:6 offset1:7
	ds_read_b32 v12, v34
	ds_read2st64_b32 v[66:67], v33 offset0:8 offset1:9
	s_waitcnt vmcnt(0) lgkmcnt(0)
	s_barrier
	buffer_gl0_inv
	v_lshlrev_b32_e32 v0, 2, v0
	v_add3_u32 v27, 0, v0, v27
	v_mul_f32_e32 v30, v38, v45
	v_mul_f32_e32 v0, v29, v45
	;; [unrolled: 1-line block ×17, first 2 shown]
	v_fmac_f32_e32 v30, v29, v44
	v_fma_f32 v29, v38, v44, -v0
	v_fmac_f32_e32 v42, v25, v46
	v_fmac_f32_e32 v68, v26, v48
	;; [unrolled: 1-line block ×4, first 2 shown]
	v_fma_f32 v38, v63, v52, -v53
	v_fmac_f32_e32 v43, v21, v54
	v_fmac_f32_e32 v69, v22, v56
	v_fma_f32 v26, v65, v56, -v57
	v_fmac_f32_e32 v49, v19, v58
	v_mul_f32_e32 v55, v21, v55
	v_fma_f32 v44, v60, v46, -v41
	v_fma_f32 v41, v61, v48, -v45
	;; [unrolled: 1-line block ×5, first 2 shown]
	v_fmac_f32_e32 v70, v20, v35
	v_add_f32_e32 v19, v31, v43
	v_add_f32_e32 v24, v42, v49
	;; [unrolled: 1-line block ×5, first 2 shown]
	v_fma_f32 v46, v64, v54, -v55
	v_add_f32_e32 v64, v41, v25
	v_add_f32_e32 v0, v9, v42
	v_sub_f32_e32 v22, v42, v31
	v_sub_f32_e32 v23, v49, v43
	v_sub_f32_e32 v35, v31, v42
	v_sub_f32_e32 v36, v43, v49
	v_sub_f32_e32 v55, v51, v68
	v_sub_f32_e32 v58, v69, v70
	v_sub_f32_e32 v60, v68, v70
	v_fma_f32 v19, -0.5, v19, v9
	v_fmac_f32_e32 v9, -0.5, v24
	v_add_f32_e32 v24, v48, v51
	v_fma_f32 v48, -0.5, v50, v30
	v_fma_f32 v50, -0.5, v59, v29
	v_sub_f32_e32 v52, v68, v51
	v_add_f32_e32 v54, v68, v70
	v_sub_f32_e32 v61, v51, v69
	v_fma_f32 v51, -0.5, v64, v29
	v_sub_f32_e32 v56, v41, v25
	v_sub_f32_e32 v53, v70, v69
	;; [unrolled: 1-line block ×4, first 2 shown]
	v_add_f32_e32 v22, v22, v23
	v_add_f32_e32 v23, v35, v36
	;; [unrolled: 1-line block ×3, first 2 shown]
	v_fmamk_f32 v55, v60, 0x3f737871, v50
	v_sub_f32_e32 v20, v44, v47
	v_sub_f32_e32 v21, v45, v46
	;; [unrolled: 1-line block ×5, first 2 shown]
	v_fmac_f32_e32 v30, -0.5, v54
	v_fmamk_f32 v54, v61, 0xbf737871, v51
	v_fmac_f32_e32 v51, 0x3f737871, v61
	v_fmac_f32_e32 v50, 0xbf737871, v60
	v_add_f32_e32 v35, v52, v53
	v_add_f32_e32 v58, v62, v63
	v_fmamk_f32 v52, v56, 0xbf737871, v48
	v_fmac_f32_e32 v55, 0x3f167918, v61
	v_add_f32_e32 v59, v65, v66
	v_fmamk_f32 v62, v20, 0xbf737871, v19
	v_fmac_f32_e32 v19, 0x3f737871, v20
	v_fmamk_f32 v63, v21, 0x3f737871, v9
	v_fmac_f32_e32 v9, 0xbf737871, v21
	;; [unrolled: 2-line block ×3, first 2 shown]
	v_fmac_f32_e32 v54, 0x3f167918, v60
	v_fmac_f32_e32 v51, 0xbf167918, v60
	;; [unrolled: 1-line block ×4, first 2 shown]
	v_add_f32_e32 v0, v0, v31
	v_fmac_f32_e32 v52, 0xbf167918, v57
	v_fmac_f32_e32 v55, 0x3e9e377a, v58
	;; [unrolled: 1-line block ×10, first 2 shown]
	v_add_f32_e32 v24, v24, v69
	v_fmac_f32_e32 v48, 0x3f167918, v57
	v_fmac_f32_e32 v50, 0x3e9e377a, v58
	v_add_f32_e32 v0, v0, v43
	v_fmac_f32_e32 v52, 0x3e9e377a, v35
	v_mul_f32_e32 v21, 0xbf167918, v55
	v_fmac_f32_e32 v62, 0x3e9e377a, v22
	v_fmac_f32_e32 v19, 0x3e9e377a, v22
	;; [unrolled: 1-line block ×6, first 2 shown]
	v_mul_f32_e32 v22, 0xbf737871, v54
	v_mul_f32_e32 v23, 0xbf737871, v51
	v_add_f32_e32 v20, v24, v70
	v_fmac_f32_e32 v48, 0x3e9e377a, v35
	v_mul_f32_e32 v24, 0xbf167918, v50
	v_add_f32_e32 v0, v0, v49
	v_fmac_f32_e32 v21, 0x3f4f1bbd, v52
	v_fmac_f32_e32 v22, 0x3e9e377a, v53
	v_fmamk_f32 v23, v30, 0xbe9e377a, v23
	v_fmamk_f32 v24, v48, 0xbf4f1bbd, v24
	v_add_f32_e32 v35, v0, v20
	v_add_f32_e32 v36, v62, v21
	;; [unrolled: 1-line block ×4, first 2 shown]
	v_sub_f32_e32 v20, v0, v20
	v_add_f32_e32 v58, v19, v24
	v_sub_f32_e32 v21, v62, v21
	v_sub_f32_e32 v22, v63, v22
	;; [unrolled: 1-line block ×4, first 2 shown]
	ds_write2_b32 v27, v35, v36 offset1:8
	ds_write2_b32 v27, v56, v57 offset0:16 offset1:24
	ds_write2_b32 v27, v58, v20 offset0:32 offset1:40
	;; [unrolled: 1-line block ×4, first 2 shown]
	s_waitcnt lgkmcnt(0)
	s_barrier
	buffer_gl0_inv
	ds_read2_b32 v[21:22], v33 offset0:80 offset1:160
	ds_read2_b32 v[19:20], v28 offset0:112 offset1:192
	;; [unrolled: 1-line block ×3, first 2 shown]
	ds_read_b32 v35, v34
	ds_read_b32 v36, v33 offset:2240
	s_and_saveexec_b32 s1, s0
	s_cbranch_execz .LBB0_21
; %bb.20:
	ds_read2_b32 v[56:57], v37 offset0:48 offset1:128
	v_add_nc_u32_e32 v1, 0x600, v33
	ds_read2_b32 v[9:10], v33 offset0:144 offset1:224
	ds_read_b32 v0, v32
	ds_read_b32 v4, v33 offset:2496
	ds_read2_b32 v[2:3], v1 offset0:80 offset1:160
	s_waitcnt lgkmcnt(4)
	v_mov_b32_e32 v11, v56
	v_mov_b32_e32 v1, v57
.LBB0_21:
	s_or_b32 exec_lo, exec_lo, s1
	v_add_f32_e32 v56, v12, v44
	v_add_f32_e32 v57, v45, v46
	;; [unrolled: 1-line block ×3, first 2 shown]
	v_sub_f32_e32 v42, v42, v49
	v_sub_f32_e32 v31, v31, v43
	v_add_f32_e32 v56, v56, v45
	v_fma_f32 v57, -0.5, v57, v12
	v_fmac_f32_e32 v12, -0.5, v58
	v_add_f32_e32 v29, v29, v41
	v_sub_f32_e32 v49, v44, v45
	v_add_f32_e32 v43, v56, v46
	v_fmamk_f32 v56, v42, 0x3f737871, v57
	v_fmac_f32_e32 v57, 0xbf737871, v42
	v_fmamk_f32 v58, v31, 0xbf737871, v12
	v_sub_f32_e32 v44, v45, v44
	v_sub_f32_e32 v45, v46, v47
	v_fmac_f32_e32 v12, 0x3f737871, v31
	v_sub_f32_e32 v59, v47, v46
	v_add_f32_e32 v29, v29, v38
	v_fmac_f32_e32 v56, 0x3f167918, v31
	v_fmac_f32_e32 v57, 0xbf167918, v31
	;; [unrolled: 1-line block ×3, first 2 shown]
	v_add_f32_e32 v31, v44, v45
	v_fmac_f32_e32 v12, 0xbf167918, v42
	v_add_f32_e32 v49, v49, v59
	v_add_f32_e32 v26, v29, v26
	v_mul_f32_e32 v29, 0x3f4f1bbd, v55
	v_fmac_f32_e32 v58, 0x3e9e377a, v31
	v_fmac_f32_e32 v12, 0x3e9e377a, v31
	v_mul_f32_e32 v31, 0x3e9e377a, v54
	v_mul_f32_e32 v38, 0x3e9e377a, v51
	v_mul_f32_e32 v41, 0x3f4f1bbd, v50
	v_add_f32_e32 v43, v43, v47
	v_fmac_f32_e32 v56, 0x3e9e377a, v49
	v_add_f32_e32 v25, v26, v25
	v_fmac_f32_e32 v29, 0x3f167918, v52
	v_fmac_f32_e32 v31, 0x3f737871, v53
	v_fma_f32 v26, 0x3f737871, v30, -v38
	v_fmac_f32_e32 v57, 0x3e9e377a, v49
	v_fma_f32 v30, 0x3f167918, v48, -v41
	v_add_f32_e32 v38, v43, v25
	v_add_f32_e32 v41, v56, v29
	;; [unrolled: 1-line block ×5, first 2 shown]
	v_sub_f32_e32 v25, v43, v25
	v_sub_f32_e32 v29, v56, v29
	;; [unrolled: 1-line block ×5, first 2 shown]
	s_waitcnt lgkmcnt(0)
	s_barrier
	buffer_gl0_inv
	ds_write2_b32 v27, v38, v41 offset1:8
	ds_write2_b32 v27, v42, v44 offset0:16 offset1:24
	ds_write2_b32 v27, v45, v25 offset0:32 offset1:40
	;; [unrolled: 1-line block ×4, first 2 shown]
	s_waitcnt lgkmcnt(0)
	s_barrier
	buffer_gl0_inv
	ds_read2_b32 v[25:26], v33 offset0:80 offset1:160
	ds_read2_b32 v[29:30], v28 offset0:112 offset1:192
	;; [unrolled: 1-line block ×3, first 2 shown]
	ds_read_b32 v34, v34
	ds_read_b32 v37, v33 offset:2240
	s_and_saveexec_b32 s1, s0
	s_cbranch_execz .LBB0_23
; %bb.22:
	v_add_nc_u32_e32 v5, 0x400, v33
	ds_read2_b32 v[41:42], v5 offset0:48 offset1:128
	v_add_nc_u32_e32 v5, 0x600, v33
	ds_read2_b32 v[12:13], v33 offset0:144 offset1:224
	ds_read_b32 v31, v32
	ds_read_b32 v8, v33 offset:2496
	ds_read2_b32 v[6:7], v5 offset0:80 offset1:160
	s_waitcnt lgkmcnt(4)
	v_mov_b32_e32 v14, v41
	v_mov_b32_e32 v5, v42
.LBB0_23:
	s_or_b32 exec_lo, exec_lo, s1
	s_and_saveexec_b32 s0, vcc_lo
	s_cbranch_execz .LBB0_26
; %bb.24:
	v_mul_u32_u24_e32 v32, 7, v39
	v_mul_lo_u32 v38, s5, v17
	v_mul_lo_u32 v18, s4, v18
	v_mad_u64_u32 v[53:54], null, s4, v17, 0
	v_lshlrev_b32_e32 v32, 3, v32
	v_mul_hi_u32 v17, 0xcccccccd, v39
	v_lshlrev_b64 v[15:16], 3, v[15:16]
	s_clause 0x3
	global_load_dwordx4 v[41:44], v32, s[8:9] offset:592
	global_load_dwordx4 v[45:48], v32, s[8:9] offset:576
	;; [unrolled: 1-line block ×3, first 2 shown]
	global_load_dwordx2 v[32:33], v32, s[8:9] offset:624
	v_add3_u32 v54, v54, v18, v38
	v_lshrrev_b32_e32 v18, 6, v17
	v_add_nc_u32_e32 v17, 64, v39
	v_lshlrev_b64 v[53:54], 3, v[53:54]
	v_mul_lo_u32 v18, 0x50, v18
	v_cmp_gt_u32_e32 vcc_lo, 0x50, v17
	v_add_co_u32 v38, s0, s14, v53
	v_add_co_ci_u32_e64 v53, s0, s15, v54, s0
	v_sub_nc_u32_e32 v69, v39, v18
	v_add_co_u32 v15, s0, v38, v15
	v_add_co_ci_u32_e64 v16, s0, v53, v16, s0
	v_mad_u64_u32 v[53:54], null, s2, v69, 0
	v_add_nc_u32_e32 v71, 0x50, v69
	v_add_nc_u32_e32 v72, 0xa0, v69
	;; [unrolled: 1-line block ×5, first 2 shown]
	v_mad_u64_u32 v[55:56], null, s2, v71, 0
	v_mad_u64_u32 v[57:58], null, s2, v72, 0
	;; [unrolled: 1-line block ×4, first 2 shown]
	v_mov_b32_e32 v18, v54
	v_add_nc_u32_e32 v76, 0x1e0, v69
	v_add_nc_u32_e32 v77, 0x230, v69
	v_mov_b32_e32 v38, v58
	v_mad_u64_u32 v[63:64], null, s2, v75, 0
	v_mad_u64_u32 v[69:70], null, s3, v69, v[18:19]
	v_mov_b32_e32 v18, v56
	v_mad_u64_u32 v[65:66], null, s2, v76, 0
	v_mov_b32_e32 v54, v60
	;; [unrolled: 2-line block ×3, first 2 shown]
	v_mad_u64_u32 v[70:71], null, s3, v71, v[18:19]
	v_mad_u64_u32 v[71:72], null, s3, v72, v[38:39]
	;; [unrolled: 1-line block ×4, first 2 shown]
	v_mov_b32_e32 v58, v64
	v_mov_b32_e32 v60, v66
	;; [unrolled: 1-line block ×5, first 2 shown]
	v_mad_u64_u32 v[74:75], null, s3, v75, v[58:59]
	v_mad_u64_u32 v[68:69], null, s3, v76, v[60:61]
	;; [unrolled: 1-line block ×3, first 2 shown]
	v_mov_b32_e32 v58, v71
	v_mov_b32_e32 v60, v72
	v_mov_b32_e32 v62, v73
	v_lshlrev_b64 v[53:54], 3, v[53:54]
	v_lshlrev_b64 v[55:56], 3, v[55:56]
	;; [unrolled: 1-line block ×4, first 2 shown]
	v_mov_b32_e32 v64, v74
	v_lshlrev_b64 v[61:62], 3, v[61:62]
	v_add_co_u32 v53, s0, v15, v53
	v_add_co_ci_u32_e64 v54, s0, v16, v54, s0
	v_add_co_u32 v55, s0, v15, v55
	v_add_co_ci_u32_e64 v56, s0, v16, v56, s0
	v_add_co_u32 v57, s0, v15, v57
	v_mov_b32_e32 v66, v68
	v_add_co_ci_u32_e64 v58, s0, v16, v58, s0
	v_lshlrev_b64 v[63:64], 3, v[63:64]
	v_add_co_u32 v59, s0, v15, v59
	v_mov_b32_e32 v68, v75
	v_add_co_ci_u32_e64 v60, s0, v16, v60, s0
	v_lshlrev_b64 v[65:66], 3, v[65:66]
	v_add_co_u32 v61, s0, v15, v61
	v_add_co_ci_u32_e64 v62, s0, v16, v62, s0
	v_lshlrev_b64 v[67:68], 3, v[67:68]
	v_add_co_u32 v63, s0, v15, v63
	v_add_co_ci_u32_e64 v64, s0, v16, v64, s0
	s_waitcnt vmcnt(3)
	v_mul_f32_e32 v18, v20, v44
	s_waitcnt vmcnt(2)
	v_mul_f32_e32 v38, v22, v47
	;; [unrolled: 2-line block ×3, first 2 shown]
	v_mul_f32_e32 v70, v21, v46
	v_mul_f32_e32 v71, v23, v50
	;; [unrolled: 1-line block ×3, first 2 shown]
	s_waitcnt vmcnt(0)
	v_mul_f32_e32 v73, v36, v32
	v_mul_f32_e32 v19, v19, v42
	;; [unrolled: 1-line block ×3, first 2 shown]
	s_waitcnt lgkmcnt(4)
	v_mul_f32_e32 v46, v25, v46
	s_waitcnt lgkmcnt(2)
	v_mul_f32_e32 v50, v27, v50
	v_mul_f32_e32 v22, v22, v48
	;; [unrolled: 1-line block ×4, first 2 shown]
	v_fma_f32 v18, v30, v43, -v18
	v_fmac_f32_e32 v38, v26, v48
	v_fmac_f32_e32 v69, v28, v52
	v_fma_f32 v25, v25, v45, -v70
	v_fma_f32 v27, v27, v49, -v71
	v_fmac_f32_e32 v72, v29, v42
	s_waitcnt lgkmcnt(0)
	v_fmac_f32_e32 v73, v37, v33
	v_fma_f32 v29, v29, v41, -v19
	v_fma_f32 v19, v37, v32, -v36
	v_fmac_f32_e32 v46, v21, v45
	v_fmac_f32_e32 v50, v23, v49
	v_fma_f32 v21, v26, v47, -v22
	v_fma_f32 v22, v28, v51, -v24
	v_fmac_f32_e32 v44, v20, v43
	v_sub_f32_e32 v23, v34, v18
	v_sub_f32_e32 v20, v38, v69
	;; [unrolled: 1-line block ×10, first 2 shown]
	v_add_f32_e32 v36, v28, v27
	v_fma_f32 v34, v34, 2.0, -v23
	v_add_f32_e32 v37, v30, v22
	v_fma_f32 v22, v21, 2.0, -v22
	v_fma_f32 v41, v46, 2.0, -v28
	;; [unrolled: 1-line block ×7, first 2 shown]
	v_fmamk_f32 v21, v33, 0x3f3504f3, v32
	v_fmamk_f32 v20, v36, 0x3f3504f3, v37
	v_sub_f32_e32 v29, v34, v22
	v_sub_f32_e32 v26, v41, v26
	;; [unrolled: 1-line block ×4, first 2 shown]
	v_fma_f32 v43, v23, 2.0, -v32
	v_fma_f32 v44, v24, 2.0, -v33
	;; [unrolled: 1-line block ×4, first 2 shown]
	v_fmac_f32_e32 v21, 0xbf3504f3, v36
	v_fmac_f32_e32 v20, 0x3f3504f3, v33
	v_fma_f32 v36, v34, 2.0, -v29
	v_fma_f32 v33, v42, 2.0, -v27
	;; [unrolled: 1-line block ×4, first 2 shown]
	v_fmamk_f32 v25, v44, 0xbf3504f3, v43
	v_fmamk_f32 v24, v28, 0xbf3504f3, v30
	v_add_f32_e32 v22, v38, v27
	v_fma_f32 v27, v32, 2.0, -v21
	v_sub_f32_e32 v33, v36, v33
	v_sub_f32_e32 v32, v42, v34
	v_fmac_f32_e32 v25, 0xbf3504f3, v28
	v_fmac_f32_e32 v24, 0x3f3504f3, v44
	v_sub_f32_e32 v23, v29, v26
	v_add_co_u32 v18, s0, v15, v65
	v_fma_f32 v26, v37, 2.0, -v20
	v_fma_f32 v37, v36, 2.0, -v33
	;; [unrolled: 1-line block ×5, first 2 shown]
	v_add_co_ci_u32_e64 v19, s0, v16, v66, s0
	v_fma_f32 v29, v29, 2.0, -v23
	v_fma_f32 v28, v38, 2.0, -v22
	v_add_co_u32 v41, s0, v15, v67
	v_add_co_ci_u32_e64 v42, s0, v16, v68, s0
	global_store_dwordx2 v[53:54], v[36:37], off
	global_store_dwordx2 v[55:56], v[34:35], off
	;; [unrolled: 1-line block ×8, first 2 shown]
	s_and_b32 exec_lo, exec_lo, vcc_lo
	s_cbranch_execz .LBB0_26
; %bb.25:
	v_add_nc_u32_e32 v18, -16, v39
	v_cmp_gt_u32_e32 vcc_lo, 0x50, v40
	v_mov_b32_e32 v19, 0
	v_mad_u64_u32 v[34:35], null, s2, v17, 0
	v_add_nc_u32_e32 v52, 0x90, v39
	v_cndmask_b32_e32 v18, v18, v40, vcc_lo
	v_add_nc_u32_e32 v53, 0xe0, v39
	v_add_nc_u32_e32 v54, 0x130, v39
	;; [unrolled: 1-line block ×3, first 2 shown]
	v_mad_u64_u32 v[36:37], null, s2, v52, 0
	v_mul_i32_i24_e32 v18, 7, v18
	v_add_nc_u32_e32 v56, 0x1d0, v39
	v_add_nc_u32_e32 v57, 0x220, v39
	;; [unrolled: 1-line block ×3, first 2 shown]
	v_mad_u64_u32 v[38:39], null, s2, v53, 0
	v_lshlrev_b64 v[18:19], 3, v[18:19]
	v_mad_u64_u32 v[40:41], null, s2, v54, 0
	v_mad_u64_u32 v[42:43], null, s2, v55, 0
	v_mov_b32_e32 v30, v35
	v_add_co_u32 v32, vcc_lo, s8, v18
	v_add_co_ci_u32_e32 v33, vcc_lo, s9, v19, vcc_lo
	s_clause 0x3
	global_load_dwordx4 v[18:21], v[32:33], off offset:576
	global_load_dwordx4 v[22:25], v[32:33], off offset:592
	;; [unrolled: 1-line block ×3, first 2 shown]
	global_load_dwordx2 v[32:33], v[32:33], off offset:624
	v_mad_u64_u32 v[50:51], null, s3, v17, v[30:31]
	v_mov_b32_e32 v17, v37
	v_mov_b32_e32 v30, v39
	v_mad_u64_u32 v[44:45], null, s2, v56, 0
	v_mad_u64_u32 v[46:47], null, s2, v57, 0
	v_mov_b32_e32 v35, v41
	v_mad_u64_u32 v[48:49], null, s2, v58, 0
	v_mov_b32_e32 v37, v43
	v_mov_b32_e32 v39, v45
	v_mov_b32_e32 v41, v47
	v_mov_b32_e32 v43, v49
	s_waitcnt vmcnt(3)
	v_mad_u64_u32 v[51:52], null, s3, v52, v[17:18]
	v_mad_u64_u32 v[52:53], null, s3, v53, v[30:31]
	;; [unrolled: 1-line block ×5, first 2 shown]
	v_mov_b32_e32 v35, v50
	v_mad_u64_u32 v[49:50], null, s3, v57, v[41:42]
	v_mad_u64_u32 v[56:57], null, s3, v58, v[43:44]
	v_mov_b32_e32 v37, v51
	v_mov_b32_e32 v39, v52
	;; [unrolled: 1-line block ×4, first 2 shown]
	v_mul_f32_e32 v17, v12, v19
	v_mul_f32_e32 v19, v9, v19
	v_mul_f32_e32 v30, v13, v21
	v_mul_f32_e32 v21, v10, v21
	s_waitcnt vmcnt(2)
	v_mul_f32_e32 v50, v14, v23
	v_mul_f32_e32 v23, v11, v23
	v_mul_f32_e32 v51, v5, v25
	v_mul_f32_e32 v25, v1, v25
	s_waitcnt vmcnt(1)
	v_mul_f32_e32 v52, v6, v27
	v_mul_f32_e32 v27, v2, v27
	v_mul_f32_e32 v53, v7, v29
	v_mul_f32_e32 v29, v3, v29
	s_waitcnt vmcnt(0)
	v_mul_f32_e32 v54, v8, v33
	v_mul_f32_e32 v33, v4, v33
	v_fmac_f32_e32 v17, v9, v18
	v_fma_f32 v9, v12, v18, -v19
	v_fmac_f32_e32 v30, v10, v20
	v_fma_f32 v10, v13, v20, -v21
	;; [unrolled: 2-line block ×7, first 2 shown]
	v_sub_f32_e32 v5, v0, v51
	v_sub_f32_e32 v1, v31, v1
	;; [unrolled: 1-line block ×8, first 2 shown]
	v_lshlrev_b64 v[34:35], 3, v[34:35]
	v_lshlrev_b64 v[36:37], 3, v[36:37]
	v_fma_f32 v12, v0, 2.0, -v5
	v_fma_f32 v13, v31, 2.0, -v1
	;; [unrolled: 1-line block ×8, first 2 shown]
	v_add_f32_e32 v18, v5, v3
	v_sub_f32_e32 v19, v1, v6
	v_add_f32_e32 v6, v7, v4
	v_sub_f32_e32 v8, v2, v8
	v_lshlrev_b64 v[38:39], 3, v[38:39]
	v_add_co_u32 v34, vcc_lo, v15, v34
	v_add_co_ci_u32_e32 v35, vcc_lo, v16, v35, vcc_lo
	v_lshlrev_b64 v[40:41], 3, v[40:41]
	v_add_co_u32 v36, vcc_lo, v15, v36
	v_sub_f32_e32 v20, v12, v0
	v_sub_f32_e32 v10, v13, v10
	v_fma_f32 v21, v5, 2.0, -v18
	v_sub_f32_e32 v5, v14, v17
	v_sub_f32_e32 v4, v9, v11
	v_mov_b32_e32 v45, v55
	v_fma_f32 v22, v1, 2.0, -v19
	v_fma_f32 v11, v7, 2.0, -v6
	;; [unrolled: 1-line block ×3, first 2 shown]
	v_add_co_ci_u32_e32 v37, vcc_lo, v16, v37, vcc_lo
	v_lshlrev_b64 v[42:43], 3, v[42:43]
	v_add_co_u32 v38, vcc_lo, v15, v38
	v_mov_b32_e32 v47, v49
	v_add_co_ci_u32_e32 v39, vcc_lo, v16, v39, vcc_lo
	v_fmamk_f32 v1, v8, 0x3f3504f3, v19
	v_fma_f32 v12, v12, 2.0, -v20
	v_fma_f32 v13, v13, 2.0, -v10
	;; [unrolled: 1-line block ×4, first 2 shown]
	v_lshlrev_b64 v[44:45], 3, v[44:45]
	v_add_co_u32 v40, vcc_lo, v15, v40
	v_fmamk_f32 v0, v6, 0x3f3504f3, v18
	v_fmamk_f32 v2, v11, 0xbf3504f3, v21
	;; [unrolled: 1-line block ×3, first 2 shown]
	v_mov_b32_e32 v49, v56
	v_add_co_ci_u32_e32 v41, vcc_lo, v16, v41, vcc_lo
	v_lshlrev_b64 v[46:47], 3, v[46:47]
	v_add_co_u32 v42, vcc_lo, v15, v42
	v_fmac_f32_e32 v1, 0xbf3504f3, v6
	v_sub_f32_e32 v6, v12, v7
	v_sub_f32_e32 v7, v13, v9
	v_add_co_ci_u32_e32 v43, vcc_lo, v16, v43, vcc_lo
	v_sub_f32_e32 v5, v10, v5
	v_fmac_f32_e32 v0, 0x3f3504f3, v8
	v_fmac_f32_e32 v2, 0x3f3504f3, v17
	;; [unrolled: 1-line block ×3, first 2 shown]
	v_lshlrev_b64 v[48:49], 3, v[48:49]
	v_add_co_u32 v44, vcc_lo, v15, v44
	v_add_f32_e32 v4, v20, v4
	v_add_co_ci_u32_e32 v45, vcc_lo, v16, v45, vcc_lo
	v_add_co_u32 v46, vcc_lo, v15, v46
	v_fma_f32 v12, v12, 2.0, -v6
	v_fma_f32 v13, v13, 2.0, -v7
	;; [unrolled: 1-line block ×6, first 2 shown]
	v_add_co_ci_u32_e32 v47, vcc_lo, v16, v47, vcc_lo
	v_fma_f32 v8, v20, 2.0, -v4
	v_fma_f32 v11, v19, 2.0, -v1
	v_add_co_u32 v14, vcc_lo, v15, v48
	v_add_co_ci_u32_e32 v15, vcc_lo, v16, v49, vcc_lo
	global_store_dwordx2 v[34:35], v[12:13], off
	global_store_dwordx2 v[36:37], v[17:18], off
	;; [unrolled: 1-line block ×8, first 2 shown]
.LBB0_26:
	s_endpgm
	.section	.rodata,"a",@progbits
	.p2align	6, 0x0
	.amdhsa_kernel fft_rtc_back_len640_factors_8_10_8_wgs_128_tpt_64_halfLds_sp_op_CI_CI_sbrr_dirReg
		.amdhsa_group_segment_fixed_size 0
		.amdhsa_private_segment_fixed_size 0
		.amdhsa_kernarg_size 104
		.amdhsa_user_sgpr_count 6
		.amdhsa_user_sgpr_private_segment_buffer 1
		.amdhsa_user_sgpr_dispatch_ptr 0
		.amdhsa_user_sgpr_queue_ptr 0
		.amdhsa_user_sgpr_kernarg_segment_ptr 1
		.amdhsa_user_sgpr_dispatch_id 0
		.amdhsa_user_sgpr_flat_scratch_init 0
		.amdhsa_user_sgpr_private_segment_size 0
		.amdhsa_wavefront_size32 1
		.amdhsa_uses_dynamic_stack 0
		.amdhsa_system_sgpr_private_segment_wavefront_offset 0
		.amdhsa_system_sgpr_workgroup_id_x 1
		.amdhsa_system_sgpr_workgroup_id_y 0
		.amdhsa_system_sgpr_workgroup_id_z 0
		.amdhsa_system_sgpr_workgroup_info 0
		.amdhsa_system_vgpr_workitem_id 0
		.amdhsa_next_free_vgpr 78
		.amdhsa_next_free_sgpr 31
		.amdhsa_reserve_vcc 1
		.amdhsa_reserve_flat_scratch 0
		.amdhsa_float_round_mode_32 0
		.amdhsa_float_round_mode_16_64 0
		.amdhsa_float_denorm_mode_32 3
		.amdhsa_float_denorm_mode_16_64 3
		.amdhsa_dx10_clamp 1
		.amdhsa_ieee_mode 1
		.amdhsa_fp16_overflow 0
		.amdhsa_workgroup_processor_mode 1
		.amdhsa_memory_ordered 1
		.amdhsa_forward_progress 0
		.amdhsa_shared_vgpr_count 0
		.amdhsa_exception_fp_ieee_invalid_op 0
		.amdhsa_exception_fp_denorm_src 0
		.amdhsa_exception_fp_ieee_div_zero 0
		.amdhsa_exception_fp_ieee_overflow 0
		.amdhsa_exception_fp_ieee_underflow 0
		.amdhsa_exception_fp_ieee_inexact 0
		.amdhsa_exception_int_div_zero 0
	.end_amdhsa_kernel
	.text
.Lfunc_end0:
	.size	fft_rtc_back_len640_factors_8_10_8_wgs_128_tpt_64_halfLds_sp_op_CI_CI_sbrr_dirReg, .Lfunc_end0-fft_rtc_back_len640_factors_8_10_8_wgs_128_tpt_64_halfLds_sp_op_CI_CI_sbrr_dirReg
                                        ; -- End function
	.section	.AMDGPU.csdata,"",@progbits
; Kernel info:
; codeLenInByte = 7232
; NumSgprs: 33
; NumVgprs: 78
; ScratchSize: 0
; MemoryBound: 0
; FloatMode: 240
; IeeeMode: 1
; LDSByteSize: 0 bytes/workgroup (compile time only)
; SGPRBlocks: 4
; VGPRBlocks: 9
; NumSGPRsForWavesPerEU: 33
; NumVGPRsForWavesPerEU: 78
; Occupancy: 12
; WaveLimiterHint : 1
; COMPUTE_PGM_RSRC2:SCRATCH_EN: 0
; COMPUTE_PGM_RSRC2:USER_SGPR: 6
; COMPUTE_PGM_RSRC2:TRAP_HANDLER: 0
; COMPUTE_PGM_RSRC2:TGID_X_EN: 1
; COMPUTE_PGM_RSRC2:TGID_Y_EN: 0
; COMPUTE_PGM_RSRC2:TGID_Z_EN: 0
; COMPUTE_PGM_RSRC2:TIDIG_COMP_CNT: 0
	.text
	.p2alignl 6, 3214868480
	.fill 48, 4, 3214868480
	.type	__hip_cuid_52a8e9e8d92804e,@object ; @__hip_cuid_52a8e9e8d92804e
	.section	.bss,"aw",@nobits
	.globl	__hip_cuid_52a8e9e8d92804e
__hip_cuid_52a8e9e8d92804e:
	.byte	0                               ; 0x0
	.size	__hip_cuid_52a8e9e8d92804e, 1

	.ident	"AMD clang version 19.0.0git (https://github.com/RadeonOpenCompute/llvm-project roc-6.4.0 25133 c7fe45cf4b819c5991fe208aaa96edf142730f1d)"
	.section	".note.GNU-stack","",@progbits
	.addrsig
	.addrsig_sym __hip_cuid_52a8e9e8d92804e
	.amdgpu_metadata
---
amdhsa.kernels:
  - .args:
      - .actual_access:  read_only
        .address_space:  global
        .offset:         0
        .size:           8
        .value_kind:     global_buffer
      - .offset:         8
        .size:           8
        .value_kind:     by_value
      - .actual_access:  read_only
        .address_space:  global
        .offset:         16
        .size:           8
        .value_kind:     global_buffer
      - .actual_access:  read_only
        .address_space:  global
        .offset:         24
        .size:           8
        .value_kind:     global_buffer
      - .actual_access:  read_only
        .address_space:  global
        .offset:         32
        .size:           8
        .value_kind:     global_buffer
      - .offset:         40
        .size:           8
        .value_kind:     by_value
      - .actual_access:  read_only
        .address_space:  global
        .offset:         48
        .size:           8
        .value_kind:     global_buffer
      - .actual_access:  read_only
        .address_space:  global
        .offset:         56
        .size:           8
        .value_kind:     global_buffer
      - .offset:         64
        .size:           4
        .value_kind:     by_value
      - .actual_access:  read_only
        .address_space:  global
        .offset:         72
        .size:           8
        .value_kind:     global_buffer
      - .actual_access:  read_only
        .address_space:  global
        .offset:         80
        .size:           8
        .value_kind:     global_buffer
      - .actual_access:  read_only
        .address_space:  global
        .offset:         88
        .size:           8
        .value_kind:     global_buffer
      - .actual_access:  write_only
        .address_space:  global
        .offset:         96
        .size:           8
        .value_kind:     global_buffer
    .group_segment_fixed_size: 0
    .kernarg_segment_align: 8
    .kernarg_segment_size: 104
    .language:       OpenCL C
    .language_version:
      - 2
      - 0
    .max_flat_workgroup_size: 128
    .name:           fft_rtc_back_len640_factors_8_10_8_wgs_128_tpt_64_halfLds_sp_op_CI_CI_sbrr_dirReg
    .private_segment_fixed_size: 0
    .sgpr_count:     33
    .sgpr_spill_count: 0
    .symbol:         fft_rtc_back_len640_factors_8_10_8_wgs_128_tpt_64_halfLds_sp_op_CI_CI_sbrr_dirReg.kd
    .uniform_work_group_size: 1
    .uses_dynamic_stack: false
    .vgpr_count:     78
    .vgpr_spill_count: 0
    .wavefront_size: 32
    .workgroup_processor_mode: 1
amdhsa.target:   amdgcn-amd-amdhsa--gfx1030
amdhsa.version:
  - 1
  - 2
...

	.end_amdgpu_metadata
